;; amdgpu-corpus repo=ROCm/rocFFT kind=compiled arch=gfx906 opt=O3
	.text
	.amdgcn_target "amdgcn-amd-amdhsa--gfx906"
	.amdhsa_code_object_version 6
	.protected	bluestein_single_back_len26_dim1_dp_op_CI_CI ; -- Begin function bluestein_single_back_len26_dim1_dp_op_CI_CI
	.globl	bluestein_single_back_len26_dim1_dp_op_CI_CI
	.p2align	8
	.type	bluestein_single_back_len26_dim1_dp_op_CI_CI,@function
bluestein_single_back_len26_dim1_dp_op_CI_CI: ; @bluestein_single_back_len26_dim1_dp_op_CI_CI
; %bb.0:
	s_load_dwordx4 s[16:19], s[4:5], 0x28
	v_lshrrev_b32_e32 v52, 1, v0
	v_lshl_or_b32 v136, s6, 5, v52
	v_mov_b32_e32 v137, 0
	s_waitcnt lgkmcnt(0)
	v_cmp_gt_u64_e32 vcc, s[16:17], v[136:137]
	s_and_saveexec_b64 s[0:1], vcc
	s_cbranch_execz .LBB0_10
; %bb.1:
	s_load_dwordx4 s[0:3], s[4:5], 0x18
	v_and_b32_e32 v139, 1, v0
	v_lshlrev_b32_e32 v143, 4, v139
	v_mul_u32_u24_e32 v76, 26, v52
	v_lshl_or_b32 v140, v76, 4, v143
	s_waitcnt lgkmcnt(0)
	s_load_dwordx4 s[12:15], s[0:1], 0x0
	s_load_dwordx4 s[8:11], s[4:5], 0x0
	s_mov_b32 s26, 0x42a4c3d2
	s_mov_b32 s36, 0x66966769
	;; [unrolled: 1-line block ×3, first 2 shown]
	s_waitcnt lgkmcnt(0)
	v_mad_u64_u32 v[1:2], s[0:1], s14, v136, 0
	v_mul_lo_u32 v4, s13, v139
	v_mul_lo_u32 v3, s12, v139
	v_mov_b32_e32 v0, v2
	v_mad_u64_u32 v[5:6], s[0:1], s15, v136, v[0:1]
	v_mov_b32_e32 v6, s19
	v_lshlrev_b64 v[3:4], 4, v[3:4]
	v_mov_b32_e32 v2, v5
	v_lshlrev_b64 v[0:1], 4, v[1:2]
	s_lshl_b64 s[0:1], s[12:13], 5
	v_add_co_u32_e32 v0, vcc, s18, v0
	v_addc_co_u32_e32 v1, vcc, v6, v1, vcc
	v_add_co_u32_e32 v0, vcc, v0, v3
	v_addc_co_u32_e32 v1, vcc, v1, v4, vcc
	global_load_dwordx4 v[53:56], v[0:1], off
	v_mov_b32_e32 v18, s1
	v_add_co_u32_e32 v0, vcc, s0, v0
	v_addc_co_u32_e32 v1, vcc, v1, v18, vcc
	global_load_dwordx4 v[48:51], v143, s[8:9]
	global_load_dwordx4 v[28:31], v143, s[8:9] offset:32
	v_add_co_u32_e32 v2, vcc, s0, v0
	v_addc_co_u32_e32 v3, vcc, v1, v18, vcc
	global_load_dwordx4 v[57:60], v[0:1], off
	global_load_dwordx4 v[61:64], v[2:3], off
	v_add_co_u32_e32 v0, vcc, s0, v2
	v_addc_co_u32_e32 v1, vcc, v3, v18, vcc
	v_add_co_u32_e32 v2, vcc, s0, v0
	v_addc_co_u32_e32 v3, vcc, v1, v18, vcc
	global_load_dwordx4 v[40:43], v143, s[8:9] offset:64
	global_load_dwordx4 v[24:27], v143, s[8:9] offset:96
	global_load_dwordx4 v[65:68], v[0:1], off
	global_load_dwordx4 v[69:72], v[2:3], off
	v_add_co_u32_e32 v0, vcc, s0, v2
	v_addc_co_u32_e32 v1, vcc, v3, v18, vcc
	global_load_dwordx4 v[77:80], v[0:1], off
	global_load_dwordx4 v[44:47], v143, s[8:9] offset:128
	global_load_dwordx4 v[20:23], v143, s[8:9] offset:160
	v_add_co_u32_e32 v0, vcc, s0, v0
	v_addc_co_u32_e32 v1, vcc, v1, v18, vcc
	global_load_dwordx4 v[81:84], v[0:1], off
	v_add_co_u32_e32 v0, vcc, s0, v0
	v_addc_co_u32_e32 v1, vcc, v1, v18, vcc
	global_load_dwordx4 v[85:88], v[0:1], off
	global_load_dwordx4 v[36:39], v143, s[8:9] offset:192
	global_load_dwordx4 v[12:15], v143, s[8:9] offset:224
	v_add_co_u32_e32 v0, vcc, s0, v0
	v_addc_co_u32_e32 v1, vcc, v1, v18, vcc
	;; [unrolled: 8-line block ×3, first 2 shown]
	v_add_co_u32_e32 v16, vcc, s0, v0
	global_load_dwordx4 v[97:100], v[0:1], off
	v_addc_co_u32_e32 v17, vcc, v1, v18, vcc
	global_load_dwordx4 v[101:104], v[16:17], off
	global_load_dwordx4 v[8:11], v143, s[8:9] offset:320
	global_load_dwordx4 v[0:3], v143, s[8:9] offset:352
	v_add_co_u32_e32 v73, vcc, s0, v16
	v_addc_co_u32_e32 v74, vcc, v17, v18, vcc
	global_load_dwordx4 v[16:19], v143, s[8:9] offset:384
	global_load_dwordx4 v[105:108], v[73:74], off
	s_load_dwordx4 s[0:3], s[2:3], 0x0
	s_mov_b32 s19, 0xbfddbe06
	s_mov_b32 s18, 0x4267c47c
	;; [unrolled: 1-line block ×22, first 2 shown]
	s_waitcnt vmcnt(24)
	v_mul_f64 v[73:74], v[55:56], v[50:51]
	v_mul_f64 v[109:110], v[53:54], v[50:51]
	s_mov_b32 s38, s24
	s_mov_b32 s29, 0x3fefc445
	;; [unrolled: 1-line block ×3, first 2 shown]
	s_waitcnt vmcnt(22)
	v_mul_f64 v[111:112], v[59:60], v[30:31]
	v_mul_f64 v[113:114], v[57:58], v[30:31]
	s_mov_b32 s41, 0x3fedeba7
	v_fma_f64 v[52:53], v[53:54], v[48:49], v[73:74]
	v_fma_f64 v[54:55], v[55:56], v[48:49], -v[109:110]
	s_mov_b32 s40, s20
	s_load_dwordx2 s[4:5], s[4:5], 0x38
	v_lshlrev_b32_e32 v142, 4, v76
	v_fma_f64 v[56:57], v[57:58], v[28:29], v[111:112]
	s_waitcnt vmcnt(20)
	v_mul_f64 v[115:116], v[63:64], v[42:43]
	v_mul_f64 v[117:118], v[61:62], v[42:43]
	s_waitcnt vmcnt(18)
	v_mul_f64 v[119:120], v[67:68], v[26:27]
	v_mul_f64 v[121:122], v[65:66], v[26:27]
	v_fma_f64 v[58:59], v[59:60], v[28:29], -v[113:114]
	s_waitcnt vmcnt(15)
	v_mul_f64 v[123:124], v[71:72], v[46:47]
	v_mul_f64 v[73:74], v[69:70], v[46:47]
	v_fma_f64 v[60:61], v[61:62], v[40:41], v[115:116]
	v_fma_f64 v[62:63], v[63:64], v[40:41], -v[117:118]
	v_fma_f64 v[64:65], v[65:66], v[24:25], v[119:120]
	v_fma_f64 v[66:67], v[67:68], v[24:25], -v[121:122]
	;; [unrolled: 2-line block ×3, first 2 shown]
	v_or_b32_e32 v72, v76, v139
	v_lshlrev_b32_e32 v141, 4, v72
	ds_write_b128 v141, v[52:55]
	s_waitcnt vmcnt(14)
	v_mul_f64 v[52:53], v[79:80], v[22:23]
	v_mul_f64 v[54:55], v[77:78], v[22:23]
	ds_write_b128 v140, v[56:59] offset:32
	ds_write_b128 v140, v[60:63] offset:64
	;; [unrolled: 1-line block ×4, first 2 shown]
	s_waitcnt vmcnt(11)
	v_mul_f64 v[56:57], v[83:84], v[38:39]
	v_mul_f64 v[58:59], v[81:82], v[38:39]
	s_waitcnt vmcnt(10)
	v_mul_f64 v[60:61], v[87:88], v[14:15]
	v_mul_f64 v[62:63], v[85:86], v[14:15]
	;; [unrolled: 3-line block ×4, first 2 shown]
	v_fma_f64 v[52:53], v[77:78], v[20:21], v[52:53]
	v_fma_f64 v[54:55], v[79:80], v[20:21], -v[54:55]
	v_fma_f64 v[56:57], v[81:82], v[36:37], v[56:57]
	v_fma_f64 v[58:59], v[83:84], v[36:37], -v[58:59]
	;; [unrolled: 2-line block ×3, first 2 shown]
	s_waitcnt vmcnt(3)
	v_mul_f64 v[72:73], v[99:100], v[10:11]
	v_mul_f64 v[74:75], v[97:98], v[10:11]
	s_waitcnt vmcnt(2)
	v_mul_f64 v[77:78], v[103:104], v[2:3]
	v_mul_f64 v[79:80], v[101:102], v[2:3]
	v_fma_f64 v[64:65], v[89:90], v[32:33], v[64:65]
	v_fma_f64 v[66:67], v[91:92], v[32:33], -v[66:67]
	s_waitcnt vmcnt(0)
	v_mul_f64 v[81:82], v[107:108], v[18:19]
	v_mul_f64 v[83:84], v[105:106], v[18:19]
	v_fma_f64 v[68:69], v[93:94], v[4:5], v[68:69]
	v_fma_f64 v[70:71], v[95:96], v[4:5], -v[70:71]
	v_fma_f64 v[72:73], v[97:98], v[8:9], v[72:73]
	v_fma_f64 v[74:75], v[99:100], v[8:9], -v[74:75]
	v_fma_f64 v[77:78], v[101:102], v[0:1], v[77:78]
	v_fma_f64 v[79:80], v[103:104], v[0:1], -v[79:80]
	v_fma_f64 v[81:82], v[105:106], v[16:17], v[81:82]
	v_fma_f64 v[83:84], v[107:108], v[16:17], -v[83:84]
	ds_write_b128 v140, v[52:55] offset:160
	ds_write_b128 v140, v[56:59] offset:192
	;; [unrolled: 1-line block ×8, first 2 shown]
	s_waitcnt lgkmcnt(0)
	; wave barrier
	s_waitcnt lgkmcnt(0)
	ds_read_b128 v[72:75], v141
	ds_read_b128 v[52:55], v140 offset:32
	ds_read_b128 v[78:81], v140 offset:64
	;; [unrolled: 1-line block ×5, first 2 shown]
	v_mov_b32_e32 v77, s9
	s_waitcnt lgkmcnt(4)
	v_add_f64 v[56:57], v[72:73], v[52:53]
	v_add_f64 v[58:59], v[74:75], v[54:55]
	s_waitcnt lgkmcnt(3)
	v_add_f64 v[56:57], v[56:57], v[78:79]
	v_add_f64 v[58:59], v[58:59], v[80:81]
	;; [unrolled: 3-line block ×5, first 2 shown]
	ds_read_b128 v[56:59], v140 offset:192
	ds_read_b128 v[60:63], v140 offset:224
	s_waitcnt lgkmcnt(1)
	v_add_f64 v[68:69], v[68:69], v[56:57]
	v_add_f64 v[70:71], v[70:71], v[58:59]
	s_waitcnt lgkmcnt(0)
	v_add_f64 v[98:99], v[68:69], v[60:61]
	v_add_f64 v[100:101], v[70:71], v[62:63]
	ds_read_b128 v[68:71], v140 offset:256
	ds_read_b128 v[90:93], v140 offset:288
	;; [unrolled: 1-line block ×3, first 2 shown]
	s_waitcnt lgkmcnt(0)
	v_add_f64 v[110:111], v[54:55], -v[96:97]
	v_add_f64 v[106:107], v[98:99], v[68:69]
	v_add_f64 v[108:109], v[100:101], v[70:71]
	ds_read_b128 v[98:101], v140 offset:320
	ds_read_b128 v[102:105], v140 offset:352
	v_add_f64 v[112:113], v[52:53], -v[94:95]
	v_add_f64 v[116:117], v[54:55], v[96:97]
	v_add_f64 v[114:115], v[52:53], v[94:95]
	s_waitcnt lgkmcnt(0)
	v_mul_f64 v[52:53], v[110:111], s[18:19]
	v_add_f64 v[106:107], v[106:107], v[90:91]
	v_add_f64 v[108:109], v[108:109], v[92:93]
	v_mul_f64 v[134:135], v[110:111], s[20:21]
	v_mul_f64 v[118:119], v[112:113], s[18:19]
	;; [unrolled: 1-line block ×5, first 2 shown]
	v_fma_f64 v[122:123], v[114:115], s[14:15], v[52:53]
	v_add_f64 v[54:55], v[106:107], v[98:99]
	v_add_f64 v[106:107], v[108:109], v[100:101]
	v_fma_f64 v[108:109], v[114:115], s[14:15], -v[52:53]
	v_fma_f64 v[120:121], v[116:117], s[14:15], v[118:119]
	v_mul_f64 v[146:147], v[112:113], s[24:25]
	v_add_f64 v[156:157], v[80:81], -v[104:105]
	v_add_f64 v[158:159], v[78:79], -v[102:103]
	v_fma_f64 v[132:133], v[116:117], s[6:7], v[124:125]
	v_add_f64 v[54:55], v[54:55], v[102:103]
	v_add_f64 v[106:107], v[106:107], v[104:105]
	v_fma_f64 v[124:125], v[116:117], s[6:7], -v[124:125]
	v_fma_f64 v[148:149], v[114:115], s[16:17], -v[134:135]
	v_fma_f64 v[150:151], v[116:117], s[16:17], v[137:138]
	v_fma_f64 v[134:135], v[114:115], s[16:17], v[134:135]
	v_fma_f64 v[137:138], v[116:117], s[16:17], -v[137:138]
	v_fma_f64 v[152:153], v[114:115], s[22:23], -v[144:145]
	v_add_f64 v[52:53], v[54:55], v[94:95]
	v_add_f64 v[54:55], v[106:107], v[96:97]
	v_fma_f64 v[94:95], v[116:117], s[14:15], -v[118:119]
	v_mul_f64 v[96:97], v[110:111], s[26:27]
	v_mul_f64 v[106:107], v[112:113], s[26:27]
	;; [unrolled: 1-line block ×5, first 2 shown]
	v_fma_f64 v[154:155], v[116:117], s[22:23], v[146:147]
	v_fma_f64 v[144:145], v[114:115], s[22:23], v[144:145]
	v_fma_f64 v[146:147], v[116:117], s[22:23], -v[146:147]
	v_fma_f64 v[126:127], v[114:115], s[12:13], -v[96:97]
	v_fma_f64 v[128:129], v[116:117], s[12:13], v[106:107]
	v_fma_f64 v[96:97], v[114:115], s[12:13], v[96:97]
	v_fma_f64 v[106:107], v[116:117], s[12:13], -v[106:107]
	v_fma_f64 v[130:131], v[114:115], s[6:7], -v[118:119]
	v_fma_f64 v[118:119], v[114:115], s[6:7], v[118:119]
	v_add_f64 v[78:79], v[78:79], v[102:103]
	v_add_f64 v[80:81], v[80:81], v[104:105]
	v_mul_f64 v[102:103], v[156:157], s[26:27]
	v_mul_f64 v[104:105], v[158:159], s[26:27]
	v_fma_f64 v[160:161], v[114:115], s[30:31], -v[110:111]
	v_fma_f64 v[162:163], v[116:117], s[30:31], v[112:113]
	v_fma_f64 v[110:111], v[114:115], s[30:31], v[110:111]
	v_fma_f64 v[112:113], v[116:117], s[30:31], -v[112:113]
	v_add_f64 v[108:109], v[72:73], v[108:109]
	v_add_f64 v[120:121], v[74:75], v[120:121]
	;; [unrolled: 1-line block ×20, first 2 shown]
	v_fma_f64 v[144:145], v[78:79], s[12:13], -v[102:103]
	v_fma_f64 v[146:147], v[80:81], s[12:13], v[104:105]
	v_add_f64 v[160:161], v[72:73], v[160:161]
	v_add_f64 v[162:163], v[74:75], v[162:163]
	;; [unrolled: 1-line block ×4, first 2 shown]
	v_mul_f64 v[110:111], v[156:157], s[20:21]
	v_mul_f64 v[112:113], v[158:159], s[20:21]
	v_add_f64 v[108:109], v[144:145], v[108:109]
	v_add_f64 v[120:121], v[146:147], v[120:121]
	v_mul_f64 v[144:145], v[156:157], s[34:35]
	v_mul_f64 v[146:147], v[158:159], s[34:35]
	v_fma_f64 v[102:103], v[78:79], s[12:13], v[102:103]
	v_fma_f64 v[104:105], v[80:81], s[12:13], -v[104:105]
	v_fma_f64 v[164:165], v[78:79], s[16:17], -v[110:111]
	v_fma_f64 v[166:167], v[80:81], s[16:17], v[112:113]
	v_fma_f64 v[110:111], v[78:79], s[16:17], v[110:111]
	v_fma_f64 v[112:113], v[80:81], s[16:17], -v[112:113]
	v_fma_f64 v[168:169], v[78:79], s[30:31], -v[144:145]
	v_fma_f64 v[170:171], v[80:81], s[30:31], v[146:147]
	v_add_f64 v[102:103], v[102:103], v[122:123]
	v_add_f64 v[94:95], v[104:105], v[94:95]
	;; [unrolled: 1-line block ×4, first 2 shown]
	v_mul_f64 v[126:127], v[156:157], s[38:39]
	v_mul_f64 v[128:129], v[158:159], s[38:39]
	v_add_f64 v[96:97], v[110:111], v[96:97]
	v_add_f64 v[106:107], v[112:113], v[106:107]
	;; [unrolled: 1-line block ×4, first 2 shown]
	v_mul_f64 v[130:131], v[156:157], s[28:29]
	v_fma_f64 v[132:133], v[78:79], s[30:31], v[144:145]
	v_fma_f64 v[144:145], v[80:81], s[30:31], -v[146:147]
	v_mul_f64 v[146:147], v[158:159], s[28:29]
	v_fma_f64 v[164:165], v[78:79], s[22:23], -v[126:127]
	v_fma_f64 v[166:167], v[80:81], s[22:23], v[128:129]
	v_fma_f64 v[128:129], v[80:81], s[22:23], -v[128:129]
	v_fma_f64 v[126:127], v[78:79], s[22:23], v[126:127]
	v_fma_f64 v[168:169], v[78:79], s[6:7], -v[130:131]
	v_add_f64 v[118:119], v[132:133], v[118:119]
	v_add_f64 v[124:125], v[144:145], v[124:125]
	v_fma_f64 v[132:133], v[80:81], s[6:7], v[146:147]
	v_add_f64 v[144:145], v[164:165], v[148:149]
	v_add_f64 v[148:149], v[166:167], v[150:151]
	;; [unrolled: 1-line block ×3, first 2 shown]
	v_add_f64 v[137:138], v[84:85], -v[100:101]
	v_add_f64 v[150:151], v[82:83], -v[98:99]
	s_mov_b32 s19, 0x3fddbe06
	v_add_f64 v[126:127], v[126:127], v[134:135]
	v_add_f64 v[134:135], v[168:169], v[152:153]
	;; [unrolled: 1-line block ×3, first 2 shown]
	v_mul_f64 v[152:153], v[156:157], s[18:19]
	v_mul_f64 v[154:155], v[158:159], s[18:19]
	v_add_f64 v[82:83], v[82:83], v[98:99]
	v_add_f64 v[84:85], v[84:85], v[100:101]
	v_mul_f64 v[98:99], v[137:138], s[36:37]
	v_mul_f64 v[100:101], v[150:151], s[36:37]
	v_fma_f64 v[130:131], v[78:79], s[6:7], v[130:131]
	v_fma_f64 v[146:147], v[80:81], s[6:7], -v[146:147]
	v_fma_f64 v[156:157], v[78:79], s[14:15], -v[152:153]
	v_fma_f64 v[158:159], v[80:81], s[14:15], v[154:155]
	v_fma_f64 v[78:79], v[78:79], s[14:15], v[152:153]
	v_fma_f64 v[80:81], v[80:81], s[14:15], -v[154:155]
	v_fma_f64 v[152:153], v[82:83], s[6:7], -v[98:99]
	v_fma_f64 v[154:155], v[84:85], s[6:7], v[100:101]
	v_fma_f64 v[98:99], v[82:83], s[6:7], v[98:99]
	v_fma_f64 v[100:101], v[84:85], s[6:7], -v[100:101]
	v_add_f64 v[114:115], v[130:131], v[114:115]
	v_add_f64 v[130:131], v[156:157], v[160:161]
	;; [unrolled: 1-line block ×6, first 2 shown]
	v_mul_f64 v[108:109], v[137:138], s[34:35]
	v_mul_f64 v[152:153], v[137:138], s[40:41]
	;; [unrolled: 1-line block ×3, first 2 shown]
	v_add_f64 v[98:99], v[98:99], v[102:103]
	v_add_f64 v[94:95], v[100:101], v[94:95]
	v_mul_f64 v[120:121], v[150:151], s[34:35]
	v_add_f64 v[116:117], v[146:147], v[116:117]
	v_add_f64 v[146:147], v[158:159], v[162:163]
	v_fma_f64 v[156:157], v[82:83], s[30:31], -v[108:109]
	v_fma_f64 v[108:109], v[82:83], s[30:31], v[108:109]
	v_fma_f64 v[100:101], v[82:83], s[16:17], -v[152:153]
	v_fma_f64 v[102:103], v[84:85], s[16:17], v[154:155]
	; wave barrier
	v_fma_f64 v[158:159], v[84:85], s[30:31], v[120:121]
	v_fma_f64 v[120:121], v[84:85], s[30:31], -v[120:121]
	v_add_f64 v[104:105], v[156:157], v[104:105]
	v_add_f64 v[96:97], v[108:109], v[96:97]
	v_mul_f64 v[108:109], v[137:138], s[18:19]
	v_add_f64 v[100:101], v[100:101], v[110:111]
	v_add_f64 v[102:103], v[102:103], v[112:113]
	v_fma_f64 v[110:111], v[82:83], s[16:17], v[152:153]
	v_fma_f64 v[112:113], v[84:85], s[16:17], -v[154:155]
	v_mul_f64 v[152:153], v[137:138], s[26:27]
	v_mul_f64 v[154:155], v[150:151], s[26:27]
	v_add_f64 v[106:107], v[120:121], v[106:107]
	v_fma_f64 v[156:157], v[82:83], s[14:15], -v[108:109]
	v_fma_f64 v[108:109], v[82:83], s[14:15], v[108:109]
	v_mul_f64 v[120:121], v[150:151], s[18:19]
	v_add_f64 v[110:111], v[110:111], v[118:119]
	v_add_f64 v[112:113], v[112:113], v[124:125]
	v_fma_f64 v[118:119], v[82:83], s[12:13], -v[152:153]
	v_fma_f64 v[124:125], v[84:85], s[12:13], v[154:155]
	v_add_f64 v[122:123], v[158:159], v[122:123]
	v_add_f64 v[144:145], v[156:157], v[144:145]
	;; [unrolled: 1-line block ×3, first 2 shown]
	v_mul_f64 v[126:127], v[137:138], s[24:25]
	v_fma_f64 v[158:159], v[84:85], s[14:15], v[120:121]
	v_fma_f64 v[120:121], v[84:85], s[14:15], -v[120:121]
	v_add_f64 v[118:119], v[118:119], v[134:135]
	v_add_f64 v[124:125], v[124:125], v[132:133]
	v_add_f64 v[132:133], v[88:89], -v[92:93]
	v_add_f64 v[134:135], v[86:87], -v[90:91]
	v_fma_f64 v[137:138], v[82:83], s[12:13], v[152:153]
	v_fma_f64 v[152:153], v[82:83], s[22:23], -v[126:127]
	v_add_f64 v[86:87], v[86:87], v[90:91]
	v_add_f64 v[88:89], v[88:89], v[92:93]
	;; [unrolled: 1-line block ×3, first 2 shown]
	v_mul_f64 v[128:129], v[150:151], s[24:25]
	v_mul_f64 v[90:91], v[132:133], s[20:21]
	;; [unrolled: 1-line block ×3, first 2 shown]
	v_fma_f64 v[82:83], v[82:83], s[22:23], v[126:127]
	v_add_f64 v[114:115], v[137:138], v[114:115]
	v_add_f64 v[126:127], v[152:153], v[130:131]
	v_fma_f64 v[150:151], v[84:85], s[12:13], -v[154:155]
	v_add_f64 v[148:149], v[158:159], v[148:149]
	v_fma_f64 v[154:155], v[84:85], s[22:23], v[128:129]
	v_fma_f64 v[130:131], v[86:87], s[16:17], -v[90:91]
	v_fma_f64 v[137:138], v[88:89], s[16:17], v[92:93]
	v_add_f64 v[72:73], v[82:83], v[72:73]
	v_mul_f64 v[82:83], v[132:133], s[38:39]
	v_fma_f64 v[90:91], v[86:87], s[16:17], v[90:91]
	v_fma_f64 v[92:93], v[88:89], s[16:17], -v[92:93]
	v_fma_f64 v[84:85], v[84:85], s[22:23], -v[128:129]
	v_add_f64 v[128:129], v[154:155], v[146:147]
	v_add_f64 v[78:79], v[130:131], v[78:79]
	;; [unrolled: 1-line block ×3, first 2 shown]
	v_mul_f64 v[130:131], v[132:133], s[18:19]
	v_mul_f64 v[137:138], v[134:135], s[18:19]
	v_fma_f64 v[146:147], v[86:87], s[22:23], -v[82:83]
	v_add_f64 v[90:91], v[90:91], v[98:99]
	v_add_f64 v[92:93], v[92:93], v[94:95]
	v_fma_f64 v[82:83], v[86:87], s[22:23], v[82:83]
	v_add_f64 v[74:75], v[84:85], v[74:75]
	v_mul_f64 v[84:85], v[134:135], s[38:39]
	v_fma_f64 v[94:95], v[86:87], s[14:15], -v[130:131]
	v_fma_f64 v[98:99], v[88:89], s[14:15], v[137:138]
	s_mov_b32 s39, 0x3fcea1e5
	s_mov_b32 s38, s34
	v_add_f64 v[116:117], v[150:151], v[116:117]
	v_add_f64 v[82:83], v[82:83], v[96:97]
	v_add_f64 v[104:105], v[146:147], v[104:105]
	v_fma_f64 v[150:151], v[88:89], s[22:23], v[84:85]
	v_add_f64 v[94:95], v[94:95], v[100:101]
	v_add_f64 v[96:97], v[98:99], v[102:103]
	v_fma_f64 v[98:99], v[86:87], s[14:15], v[130:131]
	v_fma_f64 v[100:101], v[88:89], s[14:15], -v[137:138]
	v_mul_f64 v[130:131], v[132:133], s[38:39]
	v_mul_f64 v[137:138], v[134:135], s[38:39]
	;; [unrolled: 1-line block ×3, first 2 shown]
	v_add_f64 v[122:123], v[150:151], v[122:123]
	v_mul_f64 v[150:151], v[134:135], s[36:37]
	s_mov_b32 s37, 0x3fea55e2
	v_add_f64 v[98:99], v[98:99], v[110:111]
	v_add_f64 v[100:101], v[100:101], v[112:113]
	v_fma_f64 v[110:111], v[86:87], s[30:31], -v[130:131]
	v_fma_f64 v[112:113], v[88:89], s[30:31], v[137:138]
	s_mov_b32 s36, s26
	v_fma_f64 v[84:85], v[88:89], s[22:23], -v[84:85]
	v_fma_f64 v[102:103], v[86:87], s[6:7], -v[146:147]
	v_fma_f64 v[146:147], v[86:87], s[6:7], v[146:147]
	v_mul_f64 v[132:133], v[132:133], s[36:37]
	v_mul_f64 v[134:135], v[134:135], s[36:37]
	v_add_f64 v[110:111], v[110:111], v[118:119]
	v_add_f64 v[112:113], v[112:113], v[124:125]
	v_add_f64 v[118:119], v[66:67], -v[70:71]
	v_add_f64 v[124:125], v[64:65], -v[68:69]
	v_add_f64 v[84:85], v[84:85], v[106:107]
	v_fma_f64 v[106:107], v[88:89], s[6:7], v[150:151]
	v_fma_f64 v[150:151], v[88:89], s[6:7], -v[150:151]
	v_add_f64 v[102:103], v[102:103], v[144:145]
	v_add_f64 v[108:109], v[146:147], v[108:109]
	v_fma_f64 v[130:131], v[86:87], s[30:31], v[130:131]
	v_fma_f64 v[137:138], v[88:89], s[30:31], -v[137:138]
	v_fma_f64 v[144:145], v[86:87], s[12:13], -v[132:133]
	v_fma_f64 v[146:147], v[88:89], s[12:13], v[134:135]
	v_add_f64 v[64:65], v[64:65], v[68:69]
	v_add_f64 v[66:67], v[66:67], v[70:71]
	v_mul_f64 v[68:69], v[118:119], s[24:25]
	v_mul_f64 v[70:71], v[124:125], s[24:25]
	v_fma_f64 v[86:87], v[86:87], s[12:13], v[132:133]
	v_fma_f64 v[88:89], v[88:89], s[12:13], -v[134:135]
	v_add_f64 v[114:115], v[130:131], v[114:115]
	v_add_f64 v[116:117], v[137:138], v[116:117]
	;; [unrolled: 1-line block ×4, first 2 shown]
	v_fma_f64 v[130:131], v[64:65], s[22:23], -v[68:69]
	v_fma_f64 v[132:133], v[66:67], s[22:23], v[70:71]
	v_add_f64 v[72:73], v[86:87], v[72:73]
	v_add_f64 v[74:75], v[88:89], v[74:75]
	v_mul_f64 v[86:87], v[118:119], s[28:29]
	v_mul_f64 v[88:89], v[124:125], s[28:29]
	v_fma_f64 v[68:69], v[64:65], s[22:23], v[68:69]
	v_fma_f64 v[70:71], v[66:67], s[22:23], -v[70:71]
	v_add_f64 v[78:79], v[130:131], v[78:79]
	v_add_f64 v[80:81], v[132:133], v[80:81]
	v_mul_f64 v[130:131], v[118:119], s[26:27]
	v_mul_f64 v[132:133], v[124:125], s[26:27]
	v_fma_f64 v[134:135], v[64:65], s[6:7], -v[86:87]
	v_fma_f64 v[137:138], v[66:67], s[6:7], v[88:89]
	v_add_f64 v[68:69], v[68:69], v[90:91]
	v_add_f64 v[70:71], v[70:71], v[92:93]
	v_fma_f64 v[86:87], v[64:65], s[6:7], v[86:87]
	v_fma_f64 v[88:89], v[66:67], s[6:7], -v[88:89]
	v_fma_f64 v[90:91], v[64:65], s[12:13], -v[130:131]
	v_fma_f64 v[92:93], v[66:67], s[12:13], v[132:133]
	v_add_f64 v[104:105], v[134:135], v[104:105]
	v_add_f64 v[122:123], v[137:138], v[122:123]
	v_mul_f64 v[134:135], v[118:119], s[38:39]
	v_mul_f64 v[137:138], v[124:125], s[38:39]
	v_add_f64 v[82:83], v[86:87], v[82:83]
	v_add_f64 v[88:89], v[88:89], v[84:85]
	v_add_f64 v[90:91], v[90:91], v[94:95]
	v_add_f64 v[92:93], v[92:93], v[96:97]
	v_fma_f64 v[84:85], v[64:65], s[12:13], v[130:131]
	v_fma_f64 v[86:87], v[66:67], s[12:13], -v[132:133]
	v_fma_f64 v[94:95], v[64:65], s[30:31], -v[134:135]
	v_fma_f64 v[96:97], v[66:67], s[30:31], v[137:138]
	v_mul_f64 v[130:131], v[118:119], s[18:19]
	v_mul_f64 v[132:133], v[124:125], s[18:19]
	v_fma_f64 v[134:135], v[64:65], s[30:31], v[134:135]
	v_fma_f64 v[137:138], v[66:67], s[30:31], -v[137:138]
	v_add_f64 v[98:99], v[84:85], v[98:99]
	v_add_f64 v[100:101], v[86:87], v[100:101]
	v_add_f64 v[94:95], v[94:95], v[102:103]
	v_add_f64 v[96:97], v[96:97], v[106:107]
	v_fma_f64 v[84:85], v[64:65], s[14:15], -v[130:131]
	v_fma_f64 v[86:87], v[66:67], s[14:15], v[132:133]
	v_add_f64 v[102:103], v[134:135], v[108:109]
	v_add_f64 v[106:107], v[137:138], v[120:121]
	v_fma_f64 v[108:109], v[64:65], s[14:15], v[130:131]
	v_fma_f64 v[120:121], v[66:67], s[14:15], -v[132:133]
	v_mul_f64 v[118:119], v[118:119], s[20:21]
	v_mul_f64 v[124:125], v[124:125], s[20:21]
	v_add_f64 v[130:131], v[58:59], -v[62:63]
	v_add_f64 v[132:133], v[56:57], -v[60:61]
	v_add_f64 v[126:127], v[144:145], v[126:127]
	v_add_f64 v[128:129], v[146:147], v[128:129]
	;; [unrolled: 1-line block ×6, first 2 shown]
	v_fma_f64 v[84:85], v[64:65], s[16:17], -v[118:119]
	v_fma_f64 v[86:87], v[66:67], s[16:17], v[124:125]
	v_add_f64 v[116:117], v[56:57], v[60:61]
	v_add_f64 v[120:121], v[58:59], v[62:63]
	v_mul_f64 v[56:57], v[130:131], s[34:35]
	v_mul_f64 v[58:59], v[132:133], s[34:35]
	v_fma_f64 v[60:61], v[64:65], s[16:17], v[118:119]
	v_fma_f64 v[62:63], v[66:67], s[16:17], -v[124:125]
	v_mul_f64 v[64:65], v[130:131], s[18:19]
	v_mul_f64 v[66:67], v[132:133], s[18:19]
	v_add_f64 v[118:119], v[84:85], v[126:127]
	v_add_f64 v[124:125], v[86:87], v[128:129]
	v_fma_f64 v[84:85], v[116:117], s[30:31], -v[56:57]
	v_fma_f64 v[86:87], v[120:121], s[30:31], v[58:59]
	v_add_f64 v[126:127], v[60:61], v[72:73]
	v_add_f64 v[128:129], v[62:63], v[74:75]
	v_fma_f64 v[60:61], v[116:117], s[30:31], v[56:57]
	v_fma_f64 v[62:63], v[120:121], s[30:31], -v[58:59]
	v_fma_f64 v[72:73], v[116:117], s[14:15], -v[64:65]
	v_fma_f64 v[74:75], v[120:121], s[14:15], v[66:67]
	v_add_f64 v[56:57], v[84:85], v[78:79]
	v_add_f64 v[58:59], v[86:87], v[80:81]
	v_mul_f64 v[78:79], v[130:131], s[24:25]
	v_mul_f64 v[80:81], v[132:133], s[24:25]
	v_add_f64 v[84:85], v[60:61], v[68:69]
	v_add_f64 v[86:87], v[62:63], v[70:71]
	;; [unrolled: 1-line block ×4, first 2 shown]
	v_mul_f64 v[104:105], v[130:131], s[36:37]
	v_mul_f64 v[122:123], v[132:133], s[36:37]
	v_fma_f64 v[64:65], v[116:117], s[14:15], v[64:65]
	v_fma_f64 v[70:71], v[120:121], s[22:23], v[80:81]
	;; [unrolled: 1-line block ×3, first 2 shown]
	v_fma_f64 v[68:69], v[116:117], s[22:23], -v[78:79]
	v_fma_f64 v[74:75], v[120:121], s[22:23], -v[80:81]
	;; [unrolled: 1-line block ×4, first 2 shown]
	v_fma_f64 v[80:81], v[120:121], s[12:13], v[122:123]
	v_add_f64 v[64:65], v[64:65], v[82:83]
	v_add_f64 v[70:71], v[70:71], v[92:93]
	;; [unrolled: 1-line block ×3, first 2 shown]
	v_fma_f64 v[82:83], v[116:117], s[12:13], v[104:105]
	v_mul_f64 v[92:93], v[130:131], s[20:21]
	v_mul_f64 v[98:99], v[132:133], s[20:21]
	v_add_f64 v[68:69], v[68:69], v[90:91]
	v_fma_f64 v[90:91], v[120:121], s[12:13], -v[122:123]
	v_add_f64 v[78:79], v[78:79], v[94:95]
	v_add_f64 v[80:81], v[80:81], v[96:97]
	v_mul_f64 v[94:95], v[130:131], s[28:29]
	v_mul_f64 v[96:97], v[132:133], s[28:29]
	v_add_f64 v[66:67], v[66:67], v[88:89]
	v_add_f64 v[74:75], v[74:75], v[100:101]
	;; [unrolled: 1-line block ×3, first 2 shown]
	v_fma_f64 v[82:83], v[116:117], s[16:17], -v[92:93]
	v_fma_f64 v[100:101], v[120:121], s[16:17], v[98:99]
	v_add_f64 v[90:91], v[90:91], v[106:107]
	v_fma_f64 v[102:103], v[116:117], s[16:17], v[92:93]
	v_fma_f64 v[104:105], v[116:117], s[6:7], -v[94:95]
	v_fma_f64 v[106:107], v[120:121], s[6:7], v[96:97]
	v_fma_f64 v[98:99], v[120:121], s[16:17], -v[98:99]
	;; [unrolled: 2-line block ×3, first 2 shown]
	v_add_f64 v[92:93], v[82:83], v[110:111]
	v_add_f64 v[94:95], v[100:101], v[112:113]
	;; [unrolled: 1-line block ×5, first 2 shown]
	v_mul_u32_u24_e32 v82, 13, v139
	v_add_f64 v[98:99], v[98:99], v[114:115]
	v_add_f64 v[104:105], v[116:117], v[126:127]
	;; [unrolled: 1-line block ×3, first 2 shown]
	v_add_lshl_u32 v144, v76, v82, 4
	ds_write_b128 v144, v[52:55]
	ds_write_b128 v144, v[56:59] offset:16
	ds_write_b128 v144, v[60:63] offset:32
	;; [unrolled: 1-line block ×12, first 2 shown]
	s_waitcnt lgkmcnt(0)
	; wave barrier
	s_waitcnt lgkmcnt(0)
	ds_read_b128 v[88:91], v141
	ds_read_b128 v[92:95], v140 offset:32
	ds_read_b128 v[72:75], v140 offset:208
	;; [unrolled: 1-line block ×11, first 2 shown]
	v_add_co_u32_e32 v137, vcc, s8, v143
	v_addc_co_u32_e32 v138, vcc, 0, v77, vcc
	v_cmp_eq_u32_e32 vcc, 0, v139
	v_mov_b32_e32 v52, 0
	v_mov_b32_e32 v53, 0
                                        ; implicit-def: $vgpr132_vgpr133
	s_and_saveexec_b64 s[6:7], vcc
	s_cbranch_execz .LBB0_3
; %bb.2:
	ds_read_b128 v[84:87], v142 offset:192
	ds_read_b128 v[132:135], v142 offset:400
	v_mov_b32_e32 v52, 12
	v_mov_b32_e32 v53, 0
.LBB0_3:
	s_or_b64 exec, exec, s[6:7]
	global_load_dwordx4 v[56:59], v143, s[10:11]
	global_load_dwordx4 v[60:63], v143, s[10:11] offset:32
	global_load_dwordx4 v[68:71], v143, s[10:11] offset:64
	;; [unrolled: 1-line block ×5, first 2 shown]
	v_lshlrev_b32_e32 v52, 4, v52
	global_load_dwordx4 v[52:55], v52, s[10:11]
	s_waitcnt vmcnt(6) lgkmcnt(9)
	v_mul_f64 v[145:146], v[74:75], v[58:59]
	v_mul_f64 v[147:148], v[72:73], v[58:59]
	s_waitcnt vmcnt(5) lgkmcnt(8)
	v_mul_f64 v[149:150], v[114:115], v[62:63]
	v_mul_f64 v[151:152], v[112:113], v[62:63]
	;; [unrolled: 3-line block ×6, first 2 shown]
	s_waitcnt vmcnt(0)
	v_mul_f64 v[169:170], v[134:135], v[54:55]
	v_mul_f64 v[171:172], v[132:133], v[54:55]
	v_fma_f64 v[72:73], v[72:73], v[56:57], -v[145:146]
	v_fma_f64 v[74:75], v[74:75], v[56:57], v[147:148]
	v_fma_f64 v[145:146], v[112:113], v[60:61], -v[149:150]
	v_fma_f64 v[147:148], v[114:115], v[60:61], v[151:152]
	;; [unrolled: 2-line block ×7, first 2 shown]
	v_add_f64 v[112:113], v[88:89], -v[72:73]
	v_add_f64 v[114:115], v[90:91], -v[74:75]
	;; [unrolled: 1-line block ×14, first 2 shown]
	v_fma_f64 v[88:89], v[88:89], 2.0, -v[112:113]
	v_fma_f64 v[90:91], v[90:91], 2.0, -v[114:115]
	;; [unrolled: 1-line block ×12, first 2 shown]
	ds_write_b128 v141, v[88:91]
	ds_write_b128 v140, v[112:115] offset:208
	ds_write_b128 v140, v[92:95] offset:32
	;; [unrolled: 1-line block ×11, first 2 shown]
	s_and_saveexec_b64 s[6:7], vcc
	s_cbranch_execz .LBB0_5
; %bb.4:
	v_fma_f64 v[86:87], v[86:87], 2.0, -v[74:75]
	v_fma_f64 v[84:85], v[84:85], 2.0, -v[72:73]
	ds_write_b128 v142, v[84:87] offset:192
	ds_write_b128 v142, v[72:75] offset:400
.LBB0_5:
	s_or_b64 exec, exec, s[6:7]
	s_waitcnt lgkmcnt(0)
	; wave barrier
	s_waitcnt lgkmcnt(0)
	global_load_dwordx4 v[92:95], v[137:138], off offset:416
	s_add_u32 s6, s8, 0x1a0
	s_addc_u32 s7, s9, 0
	global_load_dwordx4 v[84:87], v143, s[6:7] offset:32
	global_load_dwordx4 v[88:91], v143, s[6:7] offset:64
	;; [unrolled: 1-line block ×12, first 2 shown]
	ds_read_b128 v[145:148], v141
	v_add_u32_e32 v137, v142, v143
	s_mov_b32 s24, 0x4267c47c
	s_mov_b32 s25, 0xbfddbe06
	;; [unrolled: 1-line block ×36, first 2 shown]
	s_waitcnt vmcnt(12) lgkmcnt(0)
	v_mul_f64 v[149:150], v[147:148], v[94:95]
	v_mul_f64 v[94:95], v[145:146], v[94:95]
	v_fma_f64 v[145:146], v[145:146], v[92:93], -v[149:150]
	v_fma_f64 v[147:148], v[147:148], v[92:93], v[94:95]
	ds_write_b128 v141, v[145:148]
	ds_read_b128 v[92:95], v140 offset:32
	ds_read_b128 v[145:148], v140 offset:64
	;; [unrolled: 1-line block ×12, first 2 shown]
	s_waitcnt vmcnt(11) lgkmcnt(11)
	v_mul_f64 v[189:190], v[94:95], v[86:87]
	v_mul_f64 v[86:87], v[92:93], v[86:87]
	s_waitcnt vmcnt(10) lgkmcnt(10)
	v_mul_f64 v[191:192], v[147:148], v[90:91]
	v_mul_f64 v[193:194], v[145:146], v[90:91]
	;; [unrolled: 3-line block ×6, first 2 shown]
	s_waitcnt vmcnt(5)
	v_mul_f64 v[203:204], v[163:164], v[114:115]
	v_mul_f64 v[114:115], v[161:162], v[114:115]
	s_waitcnt vmcnt(4)
	v_mul_f64 v[205:206], v[167:168], v[118:119]
	v_mul_f64 v[118:119], v[165:166], v[118:119]
	;; [unrolled: 3-line block ×5, first 2 shown]
	s_waitcnt vmcnt(0) lgkmcnt(0)
	v_mul_f64 v[213:214], v[187:188], v[134:135]
	v_mul_f64 v[134:135], v[185:186], v[134:135]
	v_fma_f64 v[90:91], v[92:93], v[84:85], -v[189:190]
	v_fma_f64 v[92:93], v[94:95], v[84:85], v[86:87]
	v_fma_f64 v[84:85], v[145:146], v[88:89], -v[191:192]
	v_fma_f64 v[86:87], v[147:148], v[88:89], v[193:194]
	;; [unrolled: 2-line block ×12, first 2 shown]
	ds_write_b128 v140, v[90:93] offset:32
	ds_write_b128 v140, v[84:87] offset:64
	;; [unrolled: 1-line block ×12, first 2 shown]
	s_waitcnt lgkmcnt(0)
	; wave barrier
	s_waitcnt lgkmcnt(0)
	ds_read_b128 v[96:99], v141
	ds_read_b128 v[84:87], v140 offset:32
	ds_read_b128 v[100:103], v140 offset:64
	;; [unrolled: 1-line block ×5, first 2 shown]
	s_waitcnt lgkmcnt(4)
	v_add_f64 v[88:89], v[96:97], v[84:85]
	v_add_f64 v[90:91], v[98:99], v[86:87]
	s_waitcnt lgkmcnt(0)
	v_add_f64 v[145:146], v[86:87], -v[114:115]
	v_add_f64 v[151:152], v[86:87], v[114:115]
	v_add_f64 v[153:154], v[84:85], v[112:113]
	v_add_f64 v[155:156], v[84:85], -v[112:113]
	v_add_f64 v[88:89], v[88:89], v[100:101]
	v_add_f64 v[90:91], v[90:91], v[102:103]
	v_mul_f64 v[84:85], v[145:146], s[24:25]
	v_mul_f64 v[157:158], v[145:146], s[12:13]
	;; [unrolled: 1-line block ×5, first 2 shown]
	v_add_f64 v[128:129], v[88:89], v[104:105]
	v_add_f64 v[130:131], v[90:91], v[106:107]
	ds_read_b128 v[116:119], v140 offset:128
	ds_read_b128 v[120:123], v140 offset:160
	ds_read_b128 v[88:91], v137 offset:192
	ds_read_b128 v[92:95], v140 offset:224
	ds_read_b128 v[124:127], v140 offset:256
	v_mul_f64 v[165:166], v[145:146], s[16:17]
	v_mul_f64 v[167:168], v[151:152], s[26:27]
	v_fma_f64 v[173:174], v[153:154], s[20:21], v[84:85]
	v_fma_f64 v[84:85], v[153:154], s[20:21], -v[84:85]
	v_mul_f64 v[169:170], v[145:146], s[30:31]
	s_waitcnt lgkmcnt(4)
	v_add_f64 v[147:148], v[128:129], v[116:117]
	v_add_f64 v[149:150], v[130:131], v[118:119]
	ds_read_b128 v[128:131], v140 offset:288
	ds_read_b128 v[132:135], v140 offset:320
	v_mul_f64 v[171:172], v[151:152], s[34:35]
	v_fma_f64 v[177:178], v[153:154], s[14:15], v[157:158]
	v_fma_f64 v[179:180], v[155:156], s[18:19], v[159:160]
	;; [unrolled: 1-line block ×4, first 2 shown]
	s_waitcnt lgkmcnt(5)
	v_add_f64 v[86:87], v[147:148], v[120:121]
	v_add_f64 v[147:148], v[149:150], v[122:123]
	v_mul_f64 v[149:150], v[151:152], s[20:21]
	v_fma_f64 v[185:186], v[153:154], s[26:27], v[165:166]
	v_fma_f64 v[187:188], v[155:156], s[28:29], v[167:168]
	v_add_f64 v[193:194], v[96:97], v[84:85]
	v_fma_f64 v[167:168], v[155:156], s[16:17], v[167:168]
	v_fma_f64 v[189:190], v[153:154], s[34:35], v[169:170]
	s_waitcnt lgkmcnt(4)
	v_add_f64 v[86:87], v[86:87], v[88:89]
	v_add_f64 v[147:148], v[147:148], v[90:91]
	v_fma_f64 v[175:176], v[155:156], s[22:23], v[149:150]
	v_fma_f64 v[149:150], v[155:156], s[24:25], v[149:150]
	;; [unrolled: 1-line block ×5, first 2 shown]
	v_mul_f64 v[145:146], v[145:146], s[38:39]
	s_waitcnt lgkmcnt(3)
	v_add_f64 v[86:87], v[86:87], v[92:93]
	v_add_f64 v[147:148], v[147:148], v[94:95]
	v_fma_f64 v[169:170], v[153:154], s[34:35], -v[169:170]
	v_fma_f64 v[171:172], v[155:156], s[30:31], v[171:172]
	v_fma_f64 v[157:158], v[153:154], s[14:15], -v[157:158]
	v_fma_f64 v[161:162], v[153:154], s[8:9], -v[161:162]
	v_fma_f64 v[165:166], v[153:154], s[26:27], -v[165:166]
	v_add_f64 v[173:174], v[96:97], v[173:174]
	s_waitcnt lgkmcnt(2)
	v_add_f64 v[86:87], v[86:87], v[124:125]
	v_add_f64 v[147:148], v[147:148], v[126:127]
	;; [unrolled: 1-line block ×8, first 2 shown]
	s_waitcnt lgkmcnt(1)
	v_add_f64 v[86:87], v[86:87], v[128:129]
	v_add_f64 v[147:148], v[147:148], v[130:131]
	s_waitcnt lgkmcnt(0)
	; wave barrier
	s_waitcnt lgkmcnt(0)
	v_add_f64 v[84:85], v[86:87], v[132:133]
	v_add_f64 v[86:87], v[147:148], v[134:135]
	;; [unrolled: 1-line block ×12, first 2 shown]
	v_add_f64 v[102:103], v[102:103], -v[110:111]
	v_mul_f64 v[110:111], v[151:152], s[40:41]
	v_fma_f64 v[151:152], v[153:154], s[40:41], v[145:146]
	v_fma_f64 v[145:146], v[153:154], s[40:41], -v[145:146]
	v_add_f64 v[84:85], v[84:85], v[112:113]
	v_add_f64 v[86:87], v[86:87], v[114:115]
	;; [unrolled: 1-line block ×6, first 2 shown]
	v_add_f64 v[100:101], v[100:101], -v[108:109]
	v_mul_f64 v[108:109], v[102:103], s[12:13]
	v_mul_f64 v[191:192], v[187:188], s[14:15]
	v_fma_f64 v[195:196], v[155:156], s[42:43], v[110:111]
	v_fma_f64 v[110:111], v[155:156], s[38:39], v[110:111]
	v_add_f64 v[153:154], v[96:97], v[169:170]
	v_add_f64 v[155:156], v[98:99], v[171:172]
	;; [unrolled: 1-line block ×4, first 2 shown]
	v_fma_f64 v[169:170], v[189:190], s[14:15], v[108:109]
	v_fma_f64 v[171:172], v[100:101], s[18:19], v[191:192]
	v_add_f64 v[195:196], v[98:99], v[195:196]
	v_add_f64 v[98:99], v[98:99], v[110:111]
	v_mul_f64 v[110:111], v[102:103], s[16:17]
	v_mul_f64 v[145:146], v[187:188], s[26:27]
	v_fma_f64 v[108:109], v[189:190], s[14:15], -v[108:109]
	v_add_f64 v[169:170], v[169:170], v[173:174]
	v_add_f64 v[171:172], v[171:172], v[175:176]
	v_fma_f64 v[173:174], v[100:101], s[12:13], v[191:192]
	v_mul_f64 v[175:176], v[102:103], s[38:39]
	v_mul_f64 v[191:192], v[187:188], s[40:41]
	v_fma_f64 v[197:198], v[189:190], s[26:27], v[110:111]
	v_fma_f64 v[110:111], v[189:190], s[26:27], -v[110:111]
	v_fma_f64 v[199:200], v[100:101], s[28:29], v[145:146]
	v_fma_f64 v[145:146], v[100:101], s[16:17], v[145:146]
	v_add_f64 v[108:109], v[108:109], v[193:194]
	v_add_f64 v[147:148], v[173:174], v[147:148]
	v_fma_f64 v[173:174], v[189:190], s[40:41], v[175:176]
	v_fma_f64 v[193:194], v[100:101], s[42:43], v[191:192]
	v_add_f64 v[149:150], v[197:198], v[149:150]
	v_add_f64 v[110:111], v[110:111], v[157:158]
	v_mul_f64 v[157:158], v[102:103], s[36:37]
	v_add_f64 v[145:146], v[145:146], v[159:160]
	v_mul_f64 v[159:160], v[187:188], s[34:35]
	v_add_f64 v[177:178], v[199:200], v[177:178]
	v_add_f64 v[173:174], v[173:174], v[179:180]
	;; [unrolled: 1-line block ×3, first 2 shown]
	v_mul_f64 v[193:194], v[187:188], s[8:9]
	v_mul_f64 v[181:182], v[102:103], s[10:11]
	v_fma_f64 v[197:198], v[189:190], s[34:35], v[157:158]
	v_fma_f64 v[157:158], v[189:190], s[34:35], -v[157:158]
	v_fma_f64 v[175:176], v[189:190], s[40:41], -v[175:176]
	v_fma_f64 v[199:200], v[100:101], s[30:31], v[159:160]
	v_fma_f64 v[159:160], v[100:101], s[36:37], v[159:160]
	;; [unrolled: 1-line block ×5, first 2 shown]
	v_mul_f64 v[102:103], v[102:103], s[22:23]
	v_add_f64 v[157:158], v[157:158], v[165:166]
	v_add_f64 v[165:166], v[106:107], -v[134:135]
	v_add_f64 v[106:107], v[106:107], v[134:135]
	v_mul_f64 v[134:135], v[187:188], s[20:21]
	v_add_f64 v[161:162], v[175:176], v[161:162]
	v_add_f64 v[175:176], v[197:198], v[183:184]
	;; [unrolled: 1-line block ×5, first 2 shown]
	v_fma_f64 v[167:168], v[189:190], s[8:9], -v[181:182]
	v_fma_f64 v[181:182], v[100:101], s[10:11], v[193:194]
	v_add_f64 v[185:186], v[104:105], v[132:133]
	v_add_f64 v[104:105], v[104:105], -v[132:133]
	v_mul_f64 v[132:133], v[165:166], s[6:7]
	v_fma_f64 v[193:194], v[100:101], s[24:25], v[134:135]
	v_fma_f64 v[100:101], v[100:101], s[22:23], v[134:135]
	v_add_f64 v[163:164], v[191:192], v[163:164]
	v_mul_f64 v[187:188], v[106:107], s[8:9]
	v_fma_f64 v[191:192], v[189:190], s[20:21], v[102:103]
	v_fma_f64 v[102:103], v[189:190], s[20:21], -v[102:103]
	v_add_f64 v[134:135], v[167:168], v[153:154]
	v_add_f64 v[153:154], v[181:182], v[155:156]
	v_fma_f64 v[155:156], v[185:186], s[8:9], v[132:133]
	v_add_f64 v[98:99], v[100:101], v[98:99]
	v_mul_f64 v[100:101], v[165:166], s[38:39]
	v_fma_f64 v[167:168], v[104:105], s[10:11], v[187:188]
	v_fma_f64 v[132:133], v[185:186], s[8:9], -v[132:133]
	v_add_f64 v[96:97], v[102:103], v[96:97]
	v_mul_f64 v[102:103], v[106:107], s[40:41]
	v_add_f64 v[151:152], v[191:192], v[151:152]
	v_add_f64 v[155:156], v[155:156], v[169:170]
	v_fma_f64 v[169:170], v[104:105], s[6:7], v[187:188]
	v_mul_f64 v[187:188], v[106:107], s[26:27]
	v_fma_f64 v[189:190], v[185:186], s[40:41], v[100:101]
	v_fma_f64 v[100:101], v[185:186], s[40:41], -v[100:101]
	v_add_f64 v[167:168], v[167:168], v[171:172]
	v_mul_f64 v[171:172], v[165:166], s[28:29]
	v_fma_f64 v[191:192], v[104:105], s[42:43], v[102:103]
	v_fma_f64 v[102:103], v[104:105], s[38:39], v[102:103]
	v_add_f64 v[108:109], v[132:133], v[108:109]
	v_add_f64 v[132:133], v[169:170], v[147:148]
	v_fma_f64 v[169:170], v[104:105], s[16:17], v[187:188]
	v_add_f64 v[100:101], v[100:101], v[110:111]
	v_mul_f64 v[110:111], v[165:166], s[22:23]
	v_fma_f64 v[147:148], v[185:186], s[26:27], v[171:172]
	v_add_f64 v[149:150], v[189:190], v[149:150]
	v_add_f64 v[102:103], v[102:103], v[145:146]
	v_mul_f64 v[145:146], v[106:107], s[20:21]
	v_add_f64 v[181:182], v[193:194], v[195:196]
	v_add_f64 v[169:170], v[169:170], v[179:180]
	v_mul_f64 v[179:180], v[106:107], s[14:15]
	v_fma_f64 v[189:190], v[185:186], s[20:21], v[110:111]
	v_fma_f64 v[110:111], v[185:186], s[20:21], -v[110:111]
	v_add_f64 v[177:178], v[191:192], v[177:178]
	v_add_f64 v[147:148], v[147:148], v[173:174]
	v_mul_f64 v[173:174], v[165:166], s[12:13]
	v_fma_f64 v[191:192], v[104:105], s[24:25], v[145:146]
	v_fma_f64 v[145:146], v[104:105], s[22:23], v[145:146]
	;; [unrolled: 1-line block ×3, first 2 shown]
	v_fma_f64 v[171:172], v[185:186], s[26:27], -v[171:172]
	v_add_f64 v[110:111], v[110:111], v[157:158]
	v_add_f64 v[157:158], v[118:119], -v[130:131]
	v_add_f64 v[118:119], v[118:119], v[130:131]
	v_fma_f64 v[187:188], v[104:105], s[28:29], v[187:188]
	v_fma_f64 v[193:194], v[185:186], s[14:15], v[173:174]
	v_add_f64 v[112:113], v[145:146], v[112:113]
	v_add_f64 v[145:146], v[195:196], v[159:160]
	v_mul_f64 v[130:131], v[165:166], s[30:31]
	v_mul_f64 v[106:107], v[106:107], s[34:35]
	v_fma_f64 v[159:160], v[185:186], s[14:15], -v[173:174]
	v_fma_f64 v[165:166], v[104:105], s[12:13], v[179:180]
	v_add_f64 v[173:174], v[116:117], v[128:129]
	v_add_f64 v[116:117], v[116:117], -v[128:129]
	v_mul_f64 v[128:129], v[157:158], s[16:17]
	v_mul_f64 v[179:180], v[118:119], s[26:27]
	v_add_f64 v[161:162], v[171:172], v[161:162]
	v_add_f64 v[163:164], v[187:188], v[163:164]
	;; [unrolled: 1-line block ×4, first 2 shown]
	v_fma_f64 v[183:184], v[185:186], s[34:35], v[130:131]
	v_fma_f64 v[187:188], v[104:105], s[36:37], v[106:107]
	v_fma_f64 v[130:131], v[185:186], s[34:35], -v[130:131]
	v_fma_f64 v[104:105], v[104:105], s[30:31], v[106:107]
	v_add_f64 v[106:107], v[159:160], v[134:135]
	v_add_f64 v[134:135], v[165:166], v[153:154]
	v_fma_f64 v[153:154], v[173:174], s[26:27], v[128:129]
	v_fma_f64 v[159:160], v[116:117], s[28:29], v[179:180]
	v_fma_f64 v[128:129], v[173:174], s[26:27], -v[128:129]
	v_add_f64 v[151:152], v[183:184], v[151:152]
	v_add_f64 v[96:97], v[130:131], v[96:97]
	;; [unrolled: 1-line block ×3, first 2 shown]
	v_mul_f64 v[104:105], v[157:158], s[36:37]
	v_mul_f64 v[130:131], v[118:119], s[34:35]
	v_add_f64 v[153:154], v[153:154], v[155:156]
	v_add_f64 v[155:156], v[159:160], v[167:168]
	v_fma_f64 v[159:160], v[116:117], s[16:17], v[179:180]
	v_mul_f64 v[167:168], v[157:158], s[22:23]
	v_mul_f64 v[179:180], v[118:119], s[20:21]
	v_add_f64 v[165:166], v[187:188], v[181:182]
	v_fma_f64 v[181:182], v[173:174], s[34:35], v[104:105]
	v_fma_f64 v[183:184], v[116:117], s[30:31], v[130:131]
	v_fma_f64 v[104:105], v[173:174], s[34:35], -v[104:105]
	v_fma_f64 v[130:131], v[116:117], s[36:37], v[130:131]
	v_add_f64 v[108:109], v[128:129], v[108:109]
	v_add_f64 v[128:129], v[159:160], v[132:133]
	v_fma_f64 v[132:133], v[173:174], s[20:21], v[167:168]
	v_fma_f64 v[159:160], v[116:117], s[24:25], v[179:180]
	v_add_f64 v[114:115], v[201:202], v[114:115]
	v_add_f64 v[149:150], v[181:182], v[149:150]
	;; [unrolled: 1-line block ×4, first 2 shown]
	v_mul_f64 v[104:105], v[157:158], s[6:7]
	v_mul_f64 v[130:131], v[118:119], s[8:9]
	v_add_f64 v[132:133], v[132:133], v[147:148]
	v_add_f64 v[147:148], v[159:160], v[169:170]
	v_fma_f64 v[159:160], v[173:174], s[20:21], -v[167:168]
	v_fma_f64 v[167:168], v[116:117], s[22:23], v[179:180]
	v_mul_f64 v[179:180], v[118:119], s[40:41]
	v_add_f64 v[177:178], v[183:184], v[177:178]
	v_mul_f64 v[169:170], v[157:158], s[42:43]
	v_fma_f64 v[181:182], v[173:174], s[8:9], v[104:105]
	v_fma_f64 v[183:184], v[116:117], s[10:11], v[130:131]
	v_fma_f64 v[104:105], v[173:174], s[8:9], -v[104:105]
	v_fma_f64 v[130:131], v[116:117], s[6:7], v[130:131]
	v_add_f64 v[159:160], v[159:160], v[161:162]
	v_add_f64 v[161:162], v[167:168], v[163:164]
	v_fma_f64 v[167:168], v[116:117], s[38:39], v[179:180]
	v_add_f64 v[114:115], v[193:194], v[114:115]
	v_fma_f64 v[163:164], v[173:174], s[40:41], v[169:170]
	v_mul_f64 v[118:119], v[118:119], s[14:15]
	v_add_f64 v[104:105], v[104:105], v[110:111]
	v_add_f64 v[110:111], v[130:131], v[112:113]
	v_mul_f64 v[112:113], v[157:158], s[18:19]
	v_fma_f64 v[157:158], v[116:117], s[42:43], v[179:180]
	v_add_f64 v[130:131], v[167:168], v[145:146]
	v_add_f64 v[145:146], v[122:123], -v[126:127]
	v_add_f64 v[122:123], v[122:123], v[126:127]
	v_add_f64 v[114:115], v[163:164], v[114:115]
	v_fma_f64 v[126:127], v[173:174], s[40:41], -v[169:170]
	v_add_f64 v[169:170], v[120:121], v[124:125]
	v_fma_f64 v[163:164], v[173:174], s[14:15], v[112:113]
	v_add_f64 v[120:121], v[120:121], -v[124:125]
	v_fma_f64 v[167:168], v[116:117], s[12:13], v[118:119]
	v_mul_f64 v[124:125], v[145:146], s[30:31]
	v_mul_f64 v[179:180], v[122:123], s[34:35]
	v_fma_f64 v[112:113], v[173:174], s[14:15], -v[112:113]
	v_fma_f64 v[116:117], v[116:117], s[18:19], v[118:119]
	v_add_f64 v[106:107], v[126:127], v[106:107]
	v_add_f64 v[118:119], v[157:158], v[134:135]
	v_add_f64 v[126:127], v[163:164], v[151:152]
	v_add_f64 v[134:135], v[167:168], v[165:166]
	v_fma_f64 v[151:152], v[169:170], s[34:35], v[124:125]
	v_fma_f64 v[157:158], v[120:121], s[36:37], v[179:180]
	v_add_f64 v[96:97], v[112:113], v[96:97]
	v_add_f64 v[98:99], v[116:117], v[98:99]
	v_mul_f64 v[112:113], v[145:146], s[10:11]
	v_mul_f64 v[116:117], v[122:123], s[8:9]
	v_fma_f64 v[124:125], v[169:170], s[34:35], -v[124:125]
	v_fma_f64 v[163:164], v[120:121], s[30:31], v[179:180]
	v_add_f64 v[151:152], v[151:152], v[153:154]
	v_add_f64 v[153:154], v[157:158], v[155:156]
	v_mul_f64 v[155:156], v[145:146], s[12:13]
	v_mul_f64 v[157:158], v[122:123], s[14:15]
	v_fma_f64 v[165:166], v[169:170], s[8:9], v[112:113]
	v_fma_f64 v[167:168], v[120:121], s[6:7], v[116:117]
	v_add_f64 v[108:109], v[124:125], v[108:109]
	v_add_f64 v[124:125], v[163:164], v[128:129]
	v_fma_f64 v[112:113], v[169:170], s[8:9], -v[112:113]
	v_fma_f64 v[116:117], v[120:121], s[10:11], v[116:117]
	v_fma_f64 v[128:129], v[169:170], s[14:15], v[155:156]
	;; [unrolled: 1-line block ×3, first 2 shown]
	v_add_f64 v[149:150], v[165:166], v[149:150]
	v_add_f64 v[165:166], v[167:168], v[177:178]
	v_mul_f64 v[167:168], v[145:146], s[42:43]
	v_mul_f64 v[173:174], v[122:123], s[40:41]
	v_add_f64 v[100:101], v[112:113], v[100:101]
	v_add_f64 v[102:103], v[116:117], v[102:103]
	;; [unrolled: 1-line block ×4, first 2 shown]
	v_fma_f64 v[128:129], v[169:170], s[14:15], -v[155:156]
	v_fma_f64 v[132:133], v[120:121], s[12:13], v[157:158]
	v_mul_f64 v[157:158], v[145:146], s[22:23]
	v_mul_f64 v[163:164], v[122:123], s[20:21]
	v_add_f64 v[171:172], v[181:182], v[171:172]
	v_fma_f64 v[147:148], v[169:170], s[40:41], v[167:168]
	v_fma_f64 v[155:156], v[120:121], s[38:39], v[173:174]
	v_fma_f64 v[167:168], v[169:170], s[40:41], -v[167:168]
	v_fma_f64 v[173:174], v[120:121], s[42:43], v[173:174]
	v_add_f64 v[128:129], v[128:129], v[159:160]
	v_add_f64 v[132:133], v[132:133], v[161:162]
	v_fma_f64 v[159:160], v[169:170], s[20:21], v[157:158]
	v_fma_f64 v[161:162], v[120:121], s[24:25], v[163:164]
	v_add_f64 v[175:176], v[183:184], v[175:176]
	v_add_f64 v[147:148], v[147:148], v[171:172]
	;; [unrolled: 1-line block ×4, first 2 shown]
	v_fma_f64 v[104:105], v[169:170], s[20:21], -v[157:158]
	v_fma_f64 v[110:111], v[120:121], s[22:23], v[163:164]
	v_mul_f64 v[145:146], v[145:146], s[16:17]
	v_mul_f64 v[122:123], v[122:123], s[26:27]
	v_add_f64 v[157:158], v[159:160], v[114:115]
	v_add_f64 v[130:131], v[161:162], v[130:131]
	v_add_f64 v[159:160], v[90:91], -v[94:95]
	v_add_f64 v[161:162], v[90:91], v[94:95]
	v_add_f64 v[155:156], v[155:156], v[175:176]
	v_add_f64 v[163:164], v[104:105], v[106:107]
	v_add_f64 v[173:174], v[110:111], v[118:119]
	v_fma_f64 v[90:91], v[169:170], s[26:27], v[145:146]
	v_add_f64 v[175:176], v[88:89], v[92:93]
	v_add_f64 v[177:178], v[88:89], -v[92:93]
	v_mul_f64 v[88:89], v[159:160], s[38:39]
	v_mul_f64 v[92:93], v[161:162], s[40:41]
	v_fma_f64 v[104:105], v[169:170], s[26:27], -v[145:146]
	v_fma_f64 v[106:107], v[120:121], s[16:17], v[122:123]
	v_mul_f64 v[110:111], v[159:160], s[22:23]
	v_mul_f64 v[114:115], v[161:162], s[20:21]
	v_fma_f64 v[94:95], v[120:121], s[28:29], v[122:123]
	v_add_f64 v[145:146], v[90:91], v[126:127]
	v_fma_f64 v[90:91], v[175:176], s[40:41], v[88:89]
	v_fma_f64 v[88:89], v[175:176], s[40:41], -v[88:89]
	v_add_f64 v[169:170], v[104:105], v[96:97]
	v_add_f64 v[179:180], v[106:107], v[98:99]
	v_fma_f64 v[96:97], v[177:178], s[38:39], v[92:93]
	v_fma_f64 v[98:99], v[175:176], s[20:21], v[110:111]
	;; [unrolled: 1-line block ×3, first 2 shown]
	v_mul_f64 v[106:107], v[159:160], s[30:31]
	v_mul_f64 v[118:119], v[161:162], s[34:35]
	v_add_f64 v[134:135], v[94:95], v[134:135]
	v_fma_f64 v[94:95], v[177:178], s[42:43], v[92:93]
	v_add_f64 v[92:93], v[90:91], v[151:152]
	v_add_f64 v[88:89], v[88:89], v[108:109]
	;; [unrolled: 1-line block ×5, first 2 shown]
	v_fma_f64 v[104:105], v[175:176], s[20:21], -v[110:111]
	v_fma_f64 v[108:109], v[177:178], s[22:23], v[114:115]
	v_fma_f64 v[110:111], v[175:176], s[34:35], v[106:107]
	;; [unrolled: 1-line block ×3, first 2 shown]
	v_mul_f64 v[120:121], v[159:160], s[18:19]
	v_mul_f64 v[122:123], v[161:162], s[14:15]
	v_fma_f64 v[118:119], v[177:178], s[30:31], v[118:119]
	v_fma_f64 v[124:125], v[175:176], s[34:35], -v[106:107]
	v_add_f64 v[100:101], v[104:105], v[100:101]
	v_add_f64 v[102:103], v[108:109], v[102:103]
	;; [unrolled: 1-line block ×4, first 2 shown]
	v_fma_f64 v[112:113], v[175:176], s[14:15], v[120:121]
	v_fma_f64 v[114:115], v[177:178], s[12:13], v[122:123]
	v_add_f64 v[110:111], v[118:119], v[132:133]
	v_fma_f64 v[116:117], v[175:176], s[14:15], -v[120:121]
	v_fma_f64 v[118:119], v[177:178], s[18:19], v[122:123]
	v_mul_f64 v[120:121], v[159:160], s[16:17]
	v_mul_f64 v[122:123], v[161:162], s[26:27]
	v_add_f64 v[108:109], v[124:125], v[128:129]
	v_mul_f64 v[124:125], v[159:160], s[10:11]
	v_mul_f64 v[126:127], v[161:162], s[8:9]
	v_add_f64 v[94:95], v[94:95], v[153:154]
	v_add_f64 v[112:113], v[112:113], v[147:148]
	;; [unrolled: 1-line block ×3, first 2 shown]
	v_fma_f64 v[128:129], v[175:176], s[26:27], v[120:121]
	v_fma_f64 v[132:133], v[177:178], s[28:29], v[122:123]
	v_fma_f64 v[147:148], v[175:176], s[26:27], -v[120:121]
	v_fma_f64 v[151:152], v[175:176], s[8:9], v[124:125]
	v_fma_f64 v[153:154], v[177:178], s[6:7], v[126:127]
	;; [unrolled: 1-line block ×3, first 2 shown]
	v_fma_f64 v[155:156], v[175:176], s[8:9], -v[124:125]
	v_fma_f64 v[159:160], v[177:178], s[10:11], v[126:127]
	v_add_f64 v[120:121], v[128:129], v[157:158]
	v_add_f64 v[122:123], v[132:133], v[130:131]
	;; [unrolled: 1-line block ×10, first 2 shown]
	ds_write_b128 v144, v[84:87]
	ds_write_b128 v144, v[92:95] offset:16
	ds_write_b128 v144, v[96:99] offset:32
	ds_write_b128 v144, v[104:107] offset:48
	ds_write_b128 v144, v[112:115] offset:64
	ds_write_b128 v144, v[120:123] offset:80
	ds_write_b128 v144, v[128:131] offset:96
	ds_write_b128 v144, v[132:135] offset:112
	ds_write_b128 v144, v[124:127] offset:128
	ds_write_b128 v144, v[116:119] offset:144
	ds_write_b128 v144, v[108:111] offset:160
	ds_write_b128 v144, v[100:103] offset:176
	ds_write_b128 v144, v[88:91] offset:192
	s_waitcnt lgkmcnt(0)
	; wave barrier
	s_waitcnt lgkmcnt(0)
	ds_read_b128 v[108:111], v141
	ds_read_b128 v[104:107], v140 offset:32
	ds_read_b128 v[120:123], v140 offset:208
	;; [unrolled: 1-line block ×11, first 2 shown]
	s_and_saveexec_b64 s[6:7], vcc
	s_cbranch_execz .LBB0_7
; %bb.6:
	ds_read_b128 v[88:91], v137 offset:192
	ds_read_b128 v[72:75], v142 offset:400
.LBB0_7:
	s_or_b64 exec, exec, s[6:7]
	s_waitcnt lgkmcnt(9)
	v_mul_f64 v[143:144], v[58:59], v[122:123]
	v_mul_f64 v[58:59], v[58:59], v[120:121]
	s_waitcnt lgkmcnt(8)
	v_mul_f64 v[145:146], v[62:63], v[126:127]
	v_mul_f64 v[62:63], v[62:63], v[124:125]
	;; [unrolled: 3-line block ×4, first 2 shown]
	v_fma_f64 v[120:121], v[56:57], v[120:121], v[143:144]
	v_fma_f64 v[58:59], v[56:57], v[122:123], -v[58:59]
	v_fma_f64 v[122:123], v[60:61], v[124:125], v[145:146]
	v_fma_f64 v[62:63], v[60:61], v[126:127], -v[62:63]
	;; [unrolled: 2-line block ×3, first 2 shown]
	s_waitcnt lgkmcnt(1)
	v_mul_f64 v[68:69], v[66:67], v[118:119]
	v_mul_f64 v[66:67], v[66:67], v[116:117]
	s_waitcnt lgkmcnt(0)
	v_mul_f64 v[70:71], v[78:79], v[114:115]
	v_mul_f64 v[78:79], v[78:79], v[112:113]
	v_fma_f64 v[128:129], v[80:81], v[128:129], v[149:150]
	v_fma_f64 v[82:83], v[80:81], v[130:131], -v[82:83]
	v_add_f64 v[56:57], v[108:109], -v[120:121]
	v_add_f64 v[58:59], v[110:111], -v[58:59]
	;; [unrolled: 1-line block ×4, first 2 shown]
	v_fma_f64 v[116:117], v[64:65], v[116:117], v[68:69]
	v_fma_f64 v[118:119], v[64:65], v[118:119], -v[66:67]
	v_fma_f64 v[112:113], v[76:77], v[112:113], v[70:71]
	v_fma_f64 v[114:115], v[76:77], v[114:115], -v[78:79]
	v_add_f64 v[76:77], v[92:93], -v[124:125]
	v_add_f64 v[78:79], v[94:95], -v[126:127]
	;; [unrolled: 1-line block ×4, first 2 shown]
	v_fma_f64 v[64:65], v[108:109], 2.0, -v[56:57]
	v_fma_f64 v[66:67], v[110:111], 2.0, -v[58:59]
	;; [unrolled: 1-line block ×4, first 2 shown]
	v_add_f64 v[104:105], v[100:101], -v[116:117]
	v_add_f64 v[106:107], v[102:103], -v[118:119]
	;; [unrolled: 1-line block ×4, first 2 shown]
	v_fma_f64 v[92:93], v[92:93], 2.0, -v[76:77]
	v_fma_f64 v[94:95], v[94:95], 2.0, -v[78:79]
	;; [unrolled: 1-line block ×8, first 2 shown]
	ds_write_b128 v141, v[64:67]
	ds_write_b128 v140, v[56:59] offset:208
	ds_write_b128 v140, v[68:71] offset:32
	;; [unrolled: 1-line block ×11, first 2 shown]
	s_and_saveexec_b64 s[6:7], vcc
	s_cbranch_execz .LBB0_9
; %bb.8:
	v_mul_f64 v[56:57], v[54:55], v[72:73]
	v_mul_f64 v[54:55], v[54:55], v[74:75]
	v_fma_f64 v[56:57], v[52:53], v[74:75], -v[56:57]
	v_fma_f64 v[52:53], v[52:53], v[72:73], v[54:55]
	v_add_f64 v[54:55], v[90:91], -v[56:57]
	v_add_f64 v[52:53], v[88:89], -v[52:53]
	v_fma_f64 v[58:59], v[90:91], 2.0, -v[54:55]
	v_fma_f64 v[56:57], v[88:89], 2.0, -v[52:53]
	ds_write_b128 v137, v[56:59] offset:192
	ds_write_b128 v142, v[52:55] offset:400
.LBB0_9:
	s_or_b64 exec, exec, s[6:7]
	s_waitcnt lgkmcnt(0)
	; wave barrier
	s_waitcnt lgkmcnt(0)
	ds_read_b128 v[52:55], v141
	ds_read_b128 v[56:59], v140 offset:32
	v_mad_u64_u32 v[62:63], s[6:7], s2, v136, 0
	s_mov_b32 s6, 0x13b13b14
	s_waitcnt lgkmcnt(1)
	v_mul_f64 v[60:61], v[50:51], v[54:55]
	v_mul_f64 v[50:51], v[50:51], v[52:53]
	s_mov_b32 s7, 0x3fa3b13b
	v_fma_f64 v[52:53], v[48:49], v[52:53], v[60:61]
	v_fma_f64 v[50:51], v[48:49], v[54:55], -v[50:51]
	v_mad_u64_u32 v[48:49], s[2:3], s3, v136, v[63:64]
	v_mov_b32_e32 v64, s5
	v_mul_lo_u32 v61, s1, v139
	v_mov_b32_e32 v63, v48
	v_lshlrev_b64 v[54:55], 4, v[62:63]
	s_waitcnt lgkmcnt(0)
	v_mul_f64 v[62:63], v[30:31], v[58:59]
	v_mul_f64 v[30:31], v[30:31], v[56:57]
	v_add_co_u32_e32 v65, vcc, s4, v54
	v_mul_f64 v[48:49], v[52:53], s[6:7]
	v_addc_co_u32_e32 v64, vcc, v64, v55, vcc
	ds_read_b128 v[52:55], v140 offset:64
	v_fma_f64 v[56:57], v[28:29], v[56:57], v[62:63]
	v_fma_f64 v[58:59], v[28:29], v[58:59], -v[30:31]
	ds_read_b128 v[28:31], v140 offset:96
	v_mul_lo_u32 v60, s0, v139
	s_waitcnt lgkmcnt(1)
	v_mul_f64 v[62:63], v[42:43], v[54:55]
	v_mul_f64 v[42:43], v[42:43], v[52:53]
	;; [unrolled: 1-line block ×3, first 2 shown]
	v_lshlrev_b64 v[60:61], 4, v[60:61]
	s_lshl_b64 s[0:1], s[0:1], 5
	v_add_co_u32_e32 v60, vcc, v65, v60
	v_addc_co_u32_e32 v61, vcc, v64, v61, vcc
	v_fma_f64 v[42:43], v[40:41], v[54:55], -v[42:43]
	s_waitcnt lgkmcnt(0)
	v_mul_f64 v[54:55], v[26:27], v[30:31]
	v_mul_f64 v[26:27], v[26:27], v[28:29]
	global_store_dwordx4 v[60:61], v[48:51], off
	v_fma_f64 v[52:53], v[40:41], v[52:53], v[62:63]
	v_mul_f64 v[48:49], v[56:57], s[6:7]
	v_mul_f64 v[50:51], v[58:59], s[6:7]
	v_mov_b32_e32 v58, s1
	v_add_co_u32_e32 v56, vcc, s0, v60
	v_addc_co_u32_e32 v57, vcc, v61, v58, vcc
	v_fma_f64 v[28:29], v[24:25], v[28:29], v[54:55]
	v_fma_f64 v[30:31], v[24:25], v[30:31], -v[26:27]
	global_store_dwordx4 v[56:57], v[48:51], off
	ds_read_b128 v[48:51], v140 offset:128
	v_mul_f64 v[40:41], v[52:53], s[6:7]
	v_mul_f64 v[42:43], v[42:43], s[6:7]
	ds_read_b128 v[24:27], v140 offset:160
	v_add_co_u32_e32 v54, vcc, s0, v56
	s_waitcnt lgkmcnt(1)
	v_mul_f64 v[52:53], v[46:47], v[50:51]
	v_mul_f64 v[46:47], v[46:47], v[48:49]
	;; [unrolled: 1-line block ×4, first 2 shown]
	v_addc_co_u32_e32 v55, vcc, v57, v58, vcc
	global_store_dwordx4 v[54:55], v[40:43], off
	s_nop 0
	v_fma_f64 v[40:41], v[44:45], v[48:49], v[52:53]
	v_fma_f64 v[42:43], v[44:45], v[50:51], -v[46:47]
	v_add_co_u32_e32 v46, vcc, s0, v54
	v_addc_co_u32_e32 v47, vcc, v55, v58, vcc
	global_store_dwordx4 v[46:47], v[28:31], off
	ds_read_b128 v[28:31], v137 offset:192
	s_waitcnt lgkmcnt(1)
	v_mul_f64 v[44:45], v[22:23], v[26:27]
	v_mul_f64 v[22:23], v[22:23], v[24:25]
	;; [unrolled: 1-line block ×4, first 2 shown]
	v_add_co_u32_e32 v46, vcc, s0, v46
	v_addc_co_u32_e32 v47, vcc, v47, v58, vcc
	v_fma_f64 v[24:25], v[20:21], v[24:25], v[44:45]
	v_fma_f64 v[22:23], v[20:21], v[26:27], -v[22:23]
	s_waitcnt lgkmcnt(0)
	v_mul_f64 v[44:45], v[38:39], v[30:31]
	v_mul_f64 v[38:39], v[38:39], v[28:29]
	global_store_dwordx4 v[46:47], v[40:43], off
	v_mul_f64 v[20:21], v[24:25], s[6:7]
	ds_read_b128 v[24:27], v140 offset:224
	v_mul_f64 v[22:23], v[22:23], s[6:7]
	v_fma_f64 v[40:41], v[36:37], v[28:29], v[44:45]
	v_fma_f64 v[36:37], v[36:37], v[30:31], -v[38:39]
	ds_read_b128 v[28:31], v140 offset:256
	s_waitcnt lgkmcnt(1)
	v_mul_f64 v[38:39], v[14:15], v[26:27]
	v_mul_f64 v[14:15], v[14:15], v[24:25]
	v_add_co_u32_e32 v42, vcc, s0, v46
	v_addc_co_u32_e32 v43, vcc, v47, v58, vcc
	global_store_dwordx4 v[42:43], v[20:23], off
	v_fma_f64 v[24:25], v[12:13], v[24:25], v[38:39]
	v_mul_f64 v[20:21], v[40:41], s[6:7]
	v_mul_f64 v[22:23], v[36:37], s[6:7]
	v_fma_f64 v[14:15], v[12:13], v[26:27], -v[14:15]
	s_waitcnt lgkmcnt(0)
	v_mul_f64 v[26:27], v[34:35], v[30:31]
	v_mul_f64 v[34:35], v[34:35], v[28:29]
	v_add_co_u32_e32 v36, vcc, s0, v42
	v_addc_co_u32_e32 v37, vcc, v43, v58, vcc
	global_store_dwordx4 v[36:37], v[20:23], off
	ds_read_b128 v[20:23], v140 offset:288
	v_mul_f64 v[12:13], v[24:25], s[6:7]
	v_mul_f64 v[14:15], v[14:15], s[6:7]
	v_fma_f64 v[28:29], v[32:33], v[28:29], v[26:27]
	ds_read_b128 v[24:27], v140 offset:320
	v_fma_f64 v[30:31], v[32:33], v[30:31], -v[34:35]
	s_waitcnt lgkmcnt(1)
	v_mul_f64 v[32:33], v[6:7], v[22:23]
	v_mul_f64 v[6:7], v[6:7], v[20:21]
	v_add_co_u32_e32 v34, vcc, s0, v36
	v_addc_co_u32_e32 v35, vcc, v37, v58, vcc
	global_store_dwordx4 v[34:35], v[12:15], off
	v_fma_f64 v[20:21], v[4:5], v[20:21], v[32:33]
	v_mul_f64 v[12:13], v[28:29], s[6:7]
	v_mul_f64 v[14:15], v[30:31], s[6:7]
	v_fma_f64 v[6:7], v[4:5], v[22:23], -v[6:7]
	s_waitcnt lgkmcnt(0)
	v_mul_f64 v[28:29], v[10:11], v[26:27]
	v_mul_f64 v[30:31], v[10:11], v[24:25]
	v_add_co_u32_e32 v32, vcc, s0, v34
	v_addc_co_u32_e32 v33, vcc, v35, v58, vcc
	global_store_dwordx4 v[32:33], v[12:15], off
	ds_read_b128 v[10:13], v140 offset:352
	v_mul_f64 v[4:5], v[20:21], s[6:7]
	ds_read_b128 v[20:23], v140 offset:384
	v_mul_f64 v[6:7], v[6:7], s[6:7]
	v_fma_f64 v[14:15], v[8:9], v[24:25], v[28:29]
	v_fma_f64 v[8:9], v[8:9], v[26:27], -v[30:31]
	s_waitcnt lgkmcnt(1)
	v_mul_f64 v[24:25], v[2:3], v[12:13]
	v_mul_f64 v[26:27], v[2:3], v[10:11]
	s_waitcnt lgkmcnt(0)
	v_mul_f64 v[28:29], v[18:19], v[22:23]
	v_mul_f64 v[18:19], v[18:19], v[20:21]
	v_add_co_u32_e32 v30, vcc, s0, v32
	v_addc_co_u32_e32 v31, vcc, v33, v58, vcc
	global_store_dwordx4 v[30:31], v[4:7], off
	v_mul_f64 v[2:3], v[14:15], s[6:7]
	v_fma_f64 v[6:7], v[0:1], v[10:11], v[24:25]
	v_fma_f64 v[0:1], v[0:1], v[12:13], -v[26:27]
	v_mul_f64 v[4:5], v[8:9], s[6:7]
	v_fma_f64 v[10:11], v[16:17], v[20:21], v[28:29]
	v_fma_f64 v[12:13], v[16:17], v[22:23], -v[18:19]
	v_add_co_u32_e32 v14, vcc, s0, v30
	v_addc_co_u32_e32 v15, vcc, v31, v58, vcc
	v_mul_f64 v[6:7], v[6:7], s[6:7]
	v_mul_f64 v[8:9], v[0:1], s[6:7]
	global_store_dwordx4 v[14:15], v[2:5], off
	v_mul_f64 v[0:1], v[10:11], s[6:7]
	v_mul_f64 v[2:3], v[12:13], s[6:7]
	v_add_co_u32_e32 v4, vcc, s0, v14
	v_addc_co_u32_e32 v5, vcc, v15, v58, vcc
	global_store_dwordx4 v[4:5], v[6:9], off
	v_add_co_u32_e32 v4, vcc, s0, v4
	v_addc_co_u32_e32 v5, vcc, v5, v58, vcc
	global_store_dwordx4 v[4:5], v[0:3], off
.LBB0_10:
	s_endpgm
	.section	.rodata,"a",@progbits
	.p2align	6, 0x0
	.amdhsa_kernel bluestein_single_back_len26_dim1_dp_op_CI_CI
		.amdhsa_group_segment_fixed_size 13312
		.amdhsa_private_segment_fixed_size 0
		.amdhsa_kernarg_size 104
		.amdhsa_user_sgpr_count 6
		.amdhsa_user_sgpr_private_segment_buffer 1
		.amdhsa_user_sgpr_dispatch_ptr 0
		.amdhsa_user_sgpr_queue_ptr 0
		.amdhsa_user_sgpr_kernarg_segment_ptr 1
		.amdhsa_user_sgpr_dispatch_id 0
		.amdhsa_user_sgpr_flat_scratch_init 0
		.amdhsa_user_sgpr_private_segment_size 0
		.amdhsa_uses_dynamic_stack 0
		.amdhsa_system_sgpr_private_segment_wavefront_offset 0
		.amdhsa_system_sgpr_workgroup_id_x 1
		.amdhsa_system_sgpr_workgroup_id_y 0
		.amdhsa_system_sgpr_workgroup_id_z 0
		.amdhsa_system_sgpr_workgroup_info 0
		.amdhsa_system_vgpr_workitem_id 0
		.amdhsa_next_free_vgpr 215
		.amdhsa_next_free_sgpr 44
		.amdhsa_reserve_vcc 1
		.amdhsa_reserve_flat_scratch 0
		.amdhsa_float_round_mode_32 0
		.amdhsa_float_round_mode_16_64 0
		.amdhsa_float_denorm_mode_32 3
		.amdhsa_float_denorm_mode_16_64 3
		.amdhsa_dx10_clamp 1
		.amdhsa_ieee_mode 1
		.amdhsa_fp16_overflow 0
		.amdhsa_exception_fp_ieee_invalid_op 0
		.amdhsa_exception_fp_denorm_src 0
		.amdhsa_exception_fp_ieee_div_zero 0
		.amdhsa_exception_fp_ieee_overflow 0
		.amdhsa_exception_fp_ieee_underflow 0
		.amdhsa_exception_fp_ieee_inexact 0
		.amdhsa_exception_int_div_zero 0
	.end_amdhsa_kernel
	.text
.Lfunc_end0:
	.size	bluestein_single_back_len26_dim1_dp_op_CI_CI, .Lfunc_end0-bluestein_single_back_len26_dim1_dp_op_CI_CI
                                        ; -- End function
	.section	.AMDGPU.csdata,"",@progbits
; Kernel info:
; codeLenInByte = 12100
; NumSgprs: 48
; NumVgprs: 215
; ScratchSize: 0
; MemoryBound: 0
; FloatMode: 240
; IeeeMode: 1
; LDSByteSize: 13312 bytes/workgroup (compile time only)
; SGPRBlocks: 5
; VGPRBlocks: 53
; NumSGPRsForWavesPerEU: 48
; NumVGPRsForWavesPerEU: 215
; Occupancy: 1
; WaveLimiterHint : 1
; COMPUTE_PGM_RSRC2:SCRATCH_EN: 0
; COMPUTE_PGM_RSRC2:USER_SGPR: 6
; COMPUTE_PGM_RSRC2:TRAP_HANDLER: 0
; COMPUTE_PGM_RSRC2:TGID_X_EN: 1
; COMPUTE_PGM_RSRC2:TGID_Y_EN: 0
; COMPUTE_PGM_RSRC2:TGID_Z_EN: 0
; COMPUTE_PGM_RSRC2:TIDIG_COMP_CNT: 0
	.type	__hip_cuid_5bc99761b7b8557d,@object ; @__hip_cuid_5bc99761b7b8557d
	.section	.bss,"aw",@nobits
	.globl	__hip_cuid_5bc99761b7b8557d
__hip_cuid_5bc99761b7b8557d:
	.byte	0                               ; 0x0
	.size	__hip_cuid_5bc99761b7b8557d, 1

	.ident	"AMD clang version 19.0.0git (https://github.com/RadeonOpenCompute/llvm-project roc-6.4.0 25133 c7fe45cf4b819c5991fe208aaa96edf142730f1d)"
	.section	".note.GNU-stack","",@progbits
	.addrsig
	.addrsig_sym __hip_cuid_5bc99761b7b8557d
	.amdgpu_metadata
---
amdhsa.kernels:
  - .args:
      - .actual_access:  read_only
        .address_space:  global
        .offset:         0
        .size:           8
        .value_kind:     global_buffer
      - .actual_access:  read_only
        .address_space:  global
        .offset:         8
        .size:           8
        .value_kind:     global_buffer
      - .actual_access:  read_only
        .address_space:  global
        .offset:         16
        .size:           8
        .value_kind:     global_buffer
      - .actual_access:  read_only
        .address_space:  global
        .offset:         24
        .size:           8
        .value_kind:     global_buffer
      - .actual_access:  read_only
        .address_space:  global
        .offset:         32
        .size:           8
        .value_kind:     global_buffer
      - .offset:         40
        .size:           8
        .value_kind:     by_value
      - .address_space:  global
        .offset:         48
        .size:           8
        .value_kind:     global_buffer
      - .address_space:  global
        .offset:         56
        .size:           8
        .value_kind:     global_buffer
      - .address_space:  global
        .offset:         64
        .size:           8
        .value_kind:     global_buffer
      - .address_space:  global
        .offset:         72
        .size:           8
        .value_kind:     global_buffer
      - .offset:         80
        .size:           4
        .value_kind:     by_value
      - .address_space:  global
        .offset:         88
        .size:           8
        .value_kind:     global_buffer
      - .address_space:  global
        .offset:         96
        .size:           8
        .value_kind:     global_buffer
    .group_segment_fixed_size: 13312
    .kernarg_segment_align: 8
    .kernarg_segment_size: 104
    .language:       OpenCL C
    .language_version:
      - 2
      - 0
    .max_flat_workgroup_size: 64
    .name:           bluestein_single_back_len26_dim1_dp_op_CI_CI
    .private_segment_fixed_size: 0
    .sgpr_count:     48
    .sgpr_spill_count: 0
    .symbol:         bluestein_single_back_len26_dim1_dp_op_CI_CI.kd
    .uniform_work_group_size: 1
    .uses_dynamic_stack: false
    .vgpr_count:     215
    .vgpr_spill_count: 0
    .wavefront_size: 64
amdhsa.target:   amdgcn-amd-amdhsa--gfx906
amdhsa.version:
  - 1
  - 2
...

	.end_amdgpu_metadata
